;; amdgpu-corpus repo=amd/amd-lab-notes kind=compiled arch=gfx90a opt=O3
	.text
	.amdgcn_target "amdgcn-amd-amdhsa--gfx90a"
	.amdhsa_code_object_version 6
	.protected	_Z20sgemm_16x16x16_batchPKfS0_Pf ; -- Begin function _Z20sgemm_16x16x16_batchPKfS0_Pf
	.globl	_Z20sgemm_16x16x16_batchPKfS0_Pf
	.p2align	8
	.type	_Z20sgemm_16x16x16_batchPKfS0_Pf,@function
_Z20sgemm_16x16x16_batchPKfS0_Pf:       ; @_Z20sgemm_16x16x16_batchPKfS0_Pf
; %bb.0:
	s_load_dwordx4 s[0:3], s[4:5], 0x0
	s_load_dwordx2 s[6:7], s[4:5], 0x10
	v_and_b32_e32 v24, 0x3ff, v0
	v_bfe_u32 v25, v0, 10, 10
	v_lshlrev_b32_e32 v1, 4, v24
	v_lshlrev_b32_e32 v0, 8, v25
	v_add_lshl_u32 v26, v1, v0, 2
	s_waitcnt lgkmcnt(0)
	global_load_dwordx4 v[16:19], v26, s[0:1]
	v_add_lshl_u32 v27, v0, v24, 2
	global_load_dword v0, v27, s[2:3]
	global_load_dword v20, v27, s[2:3] offset:64
	global_load_dword v21, v27, s[2:3] offset:128
	;; [unrolled: 1-line block ×7, first 2 shown]
	s_waitcnt vmcnt(7)
	v_mfma_f32_16x16x1f32 v[0:15], v16, v0, 0
	s_waitcnt vmcnt(6)
	v_mfma_f32_16x16x1f32 v[0:15], v17, v20, v[0:15]
	;; [unrolled: 2-line block ×4, first 2 shown]
	global_load_dwordx4 v[16:19], v26, s[0:1] offset:16
	global_load_dwordx4 v[20:23], v26, s[0:1] offset:32
	s_waitcnt vmcnt(1)
	v_mfma_f32_16x16x1f32 v[0:15], v16, v28, v[0:15]
	global_load_dword v16, v27, s[2:3] offset:512
	v_mfma_f32_16x16x1f32 v[0:15], v17, v29, v[0:15]
	global_load_dword v17, v27, s[2:3] offset:576
	;; [unrolled: 2-line block ×4, first 2 shown]
	global_load_dword v28, v27, s[2:3] offset:768
	global_load_dword v29, v27, s[2:3] offset:832
	;; [unrolled: 1-line block ×4, first 2 shown]
	s_waitcnt vmcnt(7)
	v_mfma_f32_16x16x1f32 v[0:15], v20, v16, v[0:15]
	s_waitcnt vmcnt(6)
	v_mfma_f32_16x16x1f32 v[0:15], v21, v17, v[0:15]
	s_waitcnt vmcnt(5)
	v_mfma_f32_16x16x1f32 v[0:15], v22, v18, v[0:15]
	s_waitcnt vmcnt(4)
	v_mfma_f32_16x16x1f32 v[0:15], v23, v19, v[0:15]
	global_load_dwordx4 v[16:19], v26, s[0:1] offset:48
	s_waitcnt vmcnt(0)
	v_mfma_f32_16x16x1f32 v[0:15], v16, v28, v[0:15]
	v_lshlrev_b32_e32 v16, 6, v25
	v_add_lshl_u32 v16, v16, v24, 2
	v_mfma_f32_16x16x1f32 v[0:15], v17, v29, v[0:15]
	v_mfma_f32_16x16x1f32 v[0:15], v18, v30, v[0:15]
	;; [unrolled: 1-line block ×3, first 2 shown]
	s_nop 7
	s_nop 2
	global_store_dword v16, v0, s[6:7]
	global_store_dword v16, v1, s[6:7] offset:64
	global_store_dword v16, v2, s[6:7] offset:128
	global_store_dword v16, v3, s[6:7] offset:192
	global_store_dword v16, v4, s[6:7] offset:1024
	global_store_dword v16, v5, s[6:7] offset:1088
	global_store_dword v16, v6, s[6:7] offset:1152
	global_store_dword v16, v7, s[6:7] offset:1216
	global_store_dword v16, v8, s[6:7] offset:2048
	global_store_dword v16, v9, s[6:7] offset:2112
	global_store_dword v16, v10, s[6:7] offset:2176
	global_store_dword v16, v11, s[6:7] offset:2240
	global_store_dword v16, v12, s[6:7] offset:3072
	global_store_dword v16, v13, s[6:7] offset:3136
	global_store_dword v16, v14, s[6:7] offset:3200
	global_store_dword v16, v15, s[6:7] offset:3264
	s_endpgm
	.section	.rodata,"a",@progbits
	.p2align	6, 0x0
	.amdhsa_kernel _Z20sgemm_16x16x16_batchPKfS0_Pf
		.amdhsa_group_segment_fixed_size 0
		.amdhsa_private_segment_fixed_size 0
		.amdhsa_kernarg_size 24
		.amdhsa_user_sgpr_count 6
		.amdhsa_user_sgpr_private_segment_buffer 1
		.amdhsa_user_sgpr_dispatch_ptr 0
		.amdhsa_user_sgpr_queue_ptr 0
		.amdhsa_user_sgpr_kernarg_segment_ptr 1
		.amdhsa_user_sgpr_dispatch_id 0
		.amdhsa_user_sgpr_flat_scratch_init 0
		.amdhsa_user_sgpr_kernarg_preload_length 0
		.amdhsa_user_sgpr_kernarg_preload_offset 0
		.amdhsa_user_sgpr_private_segment_size 0
		.amdhsa_uses_dynamic_stack 0
		.amdhsa_system_sgpr_private_segment_wavefront_offset 0
		.amdhsa_system_sgpr_workgroup_id_x 1
		.amdhsa_system_sgpr_workgroup_id_y 0
		.amdhsa_system_sgpr_workgroup_id_z 0
		.amdhsa_system_sgpr_workgroup_info 0
		.amdhsa_system_vgpr_workitem_id 1
		.amdhsa_next_free_vgpr 32
		.amdhsa_next_free_sgpr 8
		.amdhsa_accum_offset 32
		.amdhsa_reserve_vcc 0
		.amdhsa_reserve_flat_scratch 0
		.amdhsa_float_round_mode_32 0
		.amdhsa_float_round_mode_16_64 0
		.amdhsa_float_denorm_mode_32 3
		.amdhsa_float_denorm_mode_16_64 3
		.amdhsa_dx10_clamp 1
		.amdhsa_ieee_mode 1
		.amdhsa_fp16_overflow 0
		.amdhsa_tg_split 0
		.amdhsa_exception_fp_ieee_invalid_op 0
		.amdhsa_exception_fp_denorm_src 0
		.amdhsa_exception_fp_ieee_div_zero 0
		.amdhsa_exception_fp_ieee_overflow 0
		.amdhsa_exception_fp_ieee_underflow 0
		.amdhsa_exception_fp_ieee_inexact 0
		.amdhsa_exception_int_div_zero 0
	.end_amdhsa_kernel
	.text
.Lfunc_end0:
	.size	_Z20sgemm_16x16x16_batchPKfS0_Pf, .Lfunc_end0-_Z20sgemm_16x16x16_batchPKfS0_Pf
                                        ; -- End function
	.section	.AMDGPU.csdata,"",@progbits
; Kernel info:
; codeLenInByte = 540
; NumSgprs: 12
; NumVgprs: 32
; NumAgprs: 0
; TotalNumVgprs: 32
; ScratchSize: 0
; MemoryBound: 0
; FloatMode: 240
; IeeeMode: 1
; LDSByteSize: 0 bytes/workgroup (compile time only)
; SGPRBlocks: 1
; VGPRBlocks: 3
; NumSGPRsForWavesPerEU: 12
; NumVGPRsForWavesPerEU: 32
; AccumOffset: 32
; Occupancy: 8
; WaveLimiterHint : 1
; COMPUTE_PGM_RSRC2:SCRATCH_EN: 0
; COMPUTE_PGM_RSRC2:USER_SGPR: 6
; COMPUTE_PGM_RSRC2:TRAP_HANDLER: 0
; COMPUTE_PGM_RSRC2:TGID_X_EN: 1
; COMPUTE_PGM_RSRC2:TGID_Y_EN: 0
; COMPUTE_PGM_RSRC2:TGID_Z_EN: 0
; COMPUTE_PGM_RSRC2:TIDIG_COMP_CNT: 1
; COMPUTE_PGM_RSRC3_GFX90A:ACCUM_OFFSET: 7
; COMPUTE_PGM_RSRC3_GFX90A:TG_SPLIT: 0
	.text
	.p2alignl 6, 3212836864
	.fill 256, 4, 3212836864
	.type	__hip_cuid_3721050d90a6f6bd,@object ; @__hip_cuid_3721050d90a6f6bd
	.section	.bss,"aw",@nobits
	.globl	__hip_cuid_3721050d90a6f6bd
__hip_cuid_3721050d90a6f6bd:
	.byte	0                               ; 0x0
	.size	__hip_cuid_3721050d90a6f6bd, 1

	.ident	"AMD clang version 19.0.0git (https://github.com/RadeonOpenCompute/llvm-project roc-6.4.0 25133 c7fe45cf4b819c5991fe208aaa96edf142730f1d)"
	.section	".note.GNU-stack","",@progbits
	.addrsig
	.addrsig_sym __hip_cuid_3721050d90a6f6bd
	.amdgpu_metadata
---
amdhsa.kernels:
  - .agpr_count:     0
    .args:
      - .address_space:  global
        .offset:         0
        .size:           8
        .value_kind:     global_buffer
      - .address_space:  global
        .offset:         8
        .size:           8
        .value_kind:     global_buffer
      - .address_space:  global
        .offset:         16
        .size:           8
        .value_kind:     global_buffer
    .group_segment_fixed_size: 0
    .kernarg_segment_align: 8
    .kernarg_segment_size: 24
    .language:       OpenCL C
    .language_version:
      - 2
      - 0
    .max_flat_workgroup_size: 1024
    .name:           _Z20sgemm_16x16x16_batchPKfS0_Pf
    .private_segment_fixed_size: 0
    .sgpr_count:     12
    .sgpr_spill_count: 0
    .symbol:         _Z20sgemm_16x16x16_batchPKfS0_Pf.kd
    .uniform_work_group_size: 1
    .uses_dynamic_stack: false
    .vgpr_count:     32
    .vgpr_spill_count: 0
    .wavefront_size: 64
amdhsa.target:   amdgcn-amd-amdhsa--gfx90a
amdhsa.version:
  - 1
  - 2
...

	.end_amdgpu_metadata
